;; amdgpu-corpus repo=ROCm/rocFFT kind=compiled arch=gfx950 opt=O3
	.text
	.amdgcn_target "amdgcn-amd-amdhsa--gfx950"
	.amdhsa_code_object_version 6
	.protected	fft_rtc_fwd_len784_factors_2_2_2_2_7_7_wgs_56_tpt_56_halfLds_sp_ip_CI_sbrr_dirReg ; -- Begin function fft_rtc_fwd_len784_factors_2_2_2_2_7_7_wgs_56_tpt_56_halfLds_sp_ip_CI_sbrr_dirReg
	.globl	fft_rtc_fwd_len784_factors_2_2_2_2_7_7_wgs_56_tpt_56_halfLds_sp_ip_CI_sbrr_dirReg
	.p2align	8
	.type	fft_rtc_fwd_len784_factors_2_2_2_2_7_7_wgs_56_tpt_56_halfLds_sp_ip_CI_sbrr_dirReg,@function
fft_rtc_fwd_len784_factors_2_2_2_2_7_7_wgs_56_tpt_56_halfLds_sp_ip_CI_sbrr_dirReg: ; @fft_rtc_fwd_len784_factors_2_2_2_2_7_7_wgs_56_tpt_56_halfLds_sp_ip_CI_sbrr_dirReg
; %bb.0:
	s_load_dwordx2 s[12:13], s[0:1], 0x18
	s_load_dwordx4 s[4:7], s[0:1], 0x0
	s_load_dwordx2 s[10:11], s[0:1], 0x50
	v_mul_u32_u24_e32 v1, 0x493, v0
	v_add_u32_sdwa v6, s2, v1 dst_sel:DWORD dst_unused:UNUSED_PAD src0_sel:DWORD src1_sel:WORD_1
	s_waitcnt lgkmcnt(0)
	s_load_dwordx2 s[8:9], s[12:13], 0x0
	v_mov_b32_e32 v4, 0
	v_cmp_lt_u64_e64 s[2:3], s[6:7], 2
	v_mov_b32_e32 v7, v4
	s_and_b64 vcc, exec, s[2:3]
	v_mov_b64_e32 v[2:3], 0
	s_cbranch_vccnz .LBB0_8
; %bb.1:
	s_load_dwordx2 s[2:3], s[0:1], 0x10
	s_add_u32 s14, s12, 8
	s_addc_u32 s15, s13, 0
	s_mov_b64 s[16:17], 1
	v_mov_b64_e32 v[2:3], 0
	s_waitcnt lgkmcnt(0)
	s_add_u32 s18, s2, 8
	s_addc_u32 s19, s3, 0
.LBB0_2:                                ; =>This Inner Loop Header: Depth=1
	s_load_dwordx2 s[20:21], s[18:19], 0x0
                                        ; implicit-def: $vgpr8_vgpr9
	s_waitcnt lgkmcnt(0)
	v_or_b32_e32 v5, s21, v7
	v_cmp_ne_u64_e32 vcc, 0, v[4:5]
	s_and_saveexec_b64 s[2:3], vcc
	s_xor_b64 s[22:23], exec, s[2:3]
	s_cbranch_execz .LBB0_4
; %bb.3:                                ;   in Loop: Header=BB0_2 Depth=1
	v_cvt_f32_u32_e32 v1, s20
	v_cvt_f32_u32_e32 v5, s21
	s_sub_u32 s2, 0, s20
	s_subb_u32 s3, 0, s21
	v_fmac_f32_e32 v1, 0x4f800000, v5
	v_rcp_f32_e32 v1, v1
	s_nop 0
	v_mul_f32_e32 v1, 0x5f7ffffc, v1
	v_mul_f32_e32 v5, 0x2f800000, v1
	v_trunc_f32_e32 v5, v5
	v_fmac_f32_e32 v1, 0xcf800000, v5
	v_cvt_u32_f32_e32 v5, v5
	v_cvt_u32_f32_e32 v1, v1
	v_mul_lo_u32 v8, s2, v5
	v_mul_hi_u32 v10, s2, v1
	v_mul_lo_u32 v9, s3, v1
	v_add_u32_e32 v10, v10, v8
	v_mul_lo_u32 v12, s2, v1
	v_add_u32_e32 v13, v10, v9
	v_mul_hi_u32 v8, v1, v12
	v_mul_hi_u32 v11, v1, v13
	v_mul_lo_u32 v10, v1, v13
	v_mov_b32_e32 v9, v4
	v_lshl_add_u64 v[8:9], v[8:9], 0, v[10:11]
	v_mul_hi_u32 v11, v5, v12
	v_mul_lo_u32 v12, v5, v12
	v_add_co_u32_e32 v8, vcc, v8, v12
	v_mul_hi_u32 v10, v5, v13
	s_nop 0
	v_addc_co_u32_e32 v8, vcc, v9, v11, vcc
	v_mov_b32_e32 v9, v4
	s_nop 0
	v_addc_co_u32_e32 v11, vcc, 0, v10, vcc
	v_mul_lo_u32 v10, v5, v13
	v_lshl_add_u64 v[8:9], v[8:9], 0, v[10:11]
	v_add_co_u32_e32 v1, vcc, v1, v8
	v_mul_lo_u32 v10, s2, v1
	s_nop 0
	v_addc_co_u32_e32 v5, vcc, v5, v9, vcc
	v_mul_lo_u32 v8, s2, v5
	v_mul_hi_u32 v9, s2, v1
	v_add_u32_e32 v8, v9, v8
	v_mul_lo_u32 v9, s3, v1
	v_add_u32_e32 v12, v8, v9
	v_mul_hi_u32 v14, v5, v10
	v_mul_lo_u32 v15, v5, v10
	v_mul_hi_u32 v9, v1, v12
	v_mul_lo_u32 v8, v1, v12
	v_mul_hi_u32 v10, v1, v10
	v_mov_b32_e32 v11, v4
	v_lshl_add_u64 v[8:9], v[10:11], 0, v[8:9]
	v_add_co_u32_e32 v8, vcc, v8, v15
	v_mul_hi_u32 v13, v5, v12
	s_nop 0
	v_addc_co_u32_e32 v8, vcc, v9, v14, vcc
	v_mul_lo_u32 v10, v5, v12
	s_nop 0
	v_addc_co_u32_e32 v11, vcc, 0, v13, vcc
	v_mov_b32_e32 v9, v4
	v_lshl_add_u64 v[8:9], v[8:9], 0, v[10:11]
	v_add_co_u32_e32 v1, vcc, v1, v8
	v_mul_hi_u32 v10, v6, v1
	s_nop 0
	v_addc_co_u32_e32 v5, vcc, v5, v9, vcc
	v_mad_u64_u32 v[8:9], s[2:3], v6, v5, 0
	v_mov_b32_e32 v11, v4
	v_lshl_add_u64 v[8:9], v[10:11], 0, v[8:9]
	v_mad_u64_u32 v[12:13], s[2:3], v7, v1, 0
	v_add_co_u32_e32 v1, vcc, v8, v12
	v_mad_u64_u32 v[10:11], s[2:3], v7, v5, 0
	s_nop 0
	v_addc_co_u32_e32 v8, vcc, v9, v13, vcc
	v_mov_b32_e32 v9, v4
	s_nop 0
	v_addc_co_u32_e32 v11, vcc, 0, v11, vcc
	v_lshl_add_u64 v[8:9], v[8:9], 0, v[10:11]
	v_mul_lo_u32 v1, s21, v8
	v_mul_lo_u32 v5, s20, v9
	v_mad_u64_u32 v[10:11], s[2:3], s20, v8, 0
	v_add3_u32 v1, v11, v5, v1
	v_sub_u32_e32 v5, v7, v1
	v_mov_b32_e32 v11, s21
	v_sub_co_u32_e32 v14, vcc, v6, v10
	v_lshl_add_u64 v[12:13], v[8:9], 0, 1
	s_nop 0
	v_subb_co_u32_e64 v5, s[2:3], v5, v11, vcc
	v_subrev_co_u32_e64 v10, s[2:3], s20, v14
	v_subb_co_u32_e32 v1, vcc, v7, v1, vcc
	s_nop 0
	v_subbrev_co_u32_e64 v5, s[2:3], 0, v5, s[2:3]
	v_cmp_le_u32_e64 s[2:3], s21, v5
	v_cmp_le_u32_e32 vcc, s21, v1
	s_nop 0
	v_cndmask_b32_e64 v11, 0, -1, s[2:3]
	v_cmp_le_u32_e64 s[2:3], s20, v10
	s_nop 1
	v_cndmask_b32_e64 v10, 0, -1, s[2:3]
	v_cmp_eq_u32_e64 s[2:3], s21, v5
	s_nop 1
	v_cndmask_b32_e64 v5, v11, v10, s[2:3]
	v_lshl_add_u64 v[10:11], v[8:9], 0, 2
	v_cmp_ne_u32_e64 s[2:3], 0, v5
	s_nop 1
	v_cndmask_b32_e64 v5, v13, v11, s[2:3]
	v_cndmask_b32_e64 v11, 0, -1, vcc
	v_cmp_le_u32_e32 vcc, s20, v14
	s_nop 1
	v_cndmask_b32_e64 v13, 0, -1, vcc
	v_cmp_eq_u32_e32 vcc, s21, v1
	s_nop 1
	v_cndmask_b32_e32 v1, v11, v13, vcc
	v_cmp_ne_u32_e32 vcc, 0, v1
	v_cndmask_b32_e64 v1, v12, v10, s[2:3]
	s_nop 0
	v_cndmask_b32_e32 v9, v9, v5, vcc
	v_cndmask_b32_e32 v8, v8, v1, vcc
.LBB0_4:                                ;   in Loop: Header=BB0_2 Depth=1
	s_andn2_saveexec_b64 s[2:3], s[22:23]
	s_cbranch_execz .LBB0_6
; %bb.5:                                ;   in Loop: Header=BB0_2 Depth=1
	v_cvt_f32_u32_e32 v1, s20
	s_sub_i32 s22, 0, s20
	v_rcp_iflag_f32_e32 v1, v1
	s_nop 0
	v_mul_f32_e32 v1, 0x4f7ffffe, v1
	v_cvt_u32_f32_e32 v1, v1
	v_mul_lo_u32 v5, s22, v1
	v_mul_hi_u32 v5, v1, v5
	v_add_u32_e32 v1, v1, v5
	v_mul_hi_u32 v1, v6, v1
	v_mul_lo_u32 v5, v1, s20
	v_sub_u32_e32 v5, v6, v5
	v_add_u32_e32 v8, 1, v1
	v_subrev_u32_e32 v9, s20, v5
	v_cmp_le_u32_e32 vcc, s20, v5
	s_nop 1
	v_cndmask_b32_e32 v5, v5, v9, vcc
	v_cndmask_b32_e32 v1, v1, v8, vcc
	v_add_u32_e32 v8, 1, v1
	v_cmp_le_u32_e32 vcc, s20, v5
	v_mov_b32_e32 v9, v4
	s_nop 0
	v_cndmask_b32_e32 v8, v1, v8, vcc
.LBB0_6:                                ;   in Loop: Header=BB0_2 Depth=1
	s_or_b64 exec, exec, s[2:3]
	v_mad_u64_u32 v[10:11], s[2:3], v8, s20, 0
	s_load_dwordx2 s[2:3], s[14:15], 0x0
	v_mul_lo_u32 v1, v9, s20
	v_mul_lo_u32 v5, v8, s21
	v_add3_u32 v1, v11, v5, v1
	v_sub_co_u32_e32 v5, vcc, v6, v10
	s_add_u32 s16, s16, 1
	s_nop 0
	v_subb_co_u32_e32 v1, vcc, v7, v1, vcc
	s_addc_u32 s17, s17, 0
	s_waitcnt lgkmcnt(0)
	v_mul_lo_u32 v1, s2, v1
	v_mul_lo_u32 v6, s3, v5
	v_mad_u64_u32 v[2:3], s[2:3], s2, v5, v[2:3]
	s_add_u32 s14, s14, 8
	v_add3_u32 v3, v6, v3, v1
	s_addc_u32 s15, s15, 0
	v_mov_b64_e32 v[6:7], s[6:7]
	s_add_u32 s18, s18, 8
	v_cmp_ge_u64_e32 vcc, s[16:17], v[6:7]
	s_addc_u32 s19, s19, 0
	s_cbranch_vccnz .LBB0_9
; %bb.7:                                ;   in Loop: Header=BB0_2 Depth=1
	v_mov_b64_e32 v[6:7], v[8:9]
	s_branch .LBB0_2
.LBB0_8:
	v_mov_b64_e32 v[8:9], v[6:7]
.LBB0_9:
	s_lshl_b64 s[2:3], s[6:7], 3
	s_add_u32 s2, s12, s2
	s_addc_u32 s3, s13, s3
	s_load_dwordx2 s[6:7], s[2:3], 0x0
	s_load_dwordx2 s[12:13], s[0:1], 0x20
	s_mov_b32 s2, 0x4924925
                                        ; implicit-def: $vgpr38
                                        ; implicit-def: $vgpr30
                                        ; implicit-def: $vgpr31
                                        ; implicit-def: $vgpr32
                                        ; implicit-def: $vgpr33
                                        ; implicit-def: $vgpr34
	s_waitcnt lgkmcnt(0)
	v_mul_lo_u32 v1, s6, v9
	v_mul_lo_u32 v4, s7, v8
	v_mad_u64_u32 v[2:3], s[0:1], s6, v8, v[2:3]
	v_add3_u32 v3, v4, v3, v1
	v_mul_hi_u32 v1, v0, s2
	v_mul_u32_u24_e32 v1, 56, v1
	v_sub_u32_e32 v37, v0, v1
	v_cmp_gt_u64_e32 vcc, s[12:13], v[8:9]
	v_cmp_le_u64_e64 s[0:1], s[12:13], v[8:9]
	v_add_u32_e32 v36, 56, v37
                                        ; implicit-def: $sgpr2_sgpr3
	s_and_saveexec_b64 s[6:7], s[0:1]
	s_xor_b64 s[0:1], exec, s[6:7]
; %bb.10:
	v_add_u32_e32 v38, 56, v37
	v_add_u32_e32 v30, 0x70, v37
	;; [unrolled: 1-line block ×6, first 2 shown]
	s_mov_b64 s[2:3], 0
; %bb.11:
	s_or_saveexec_b64 s[0:1], s[0:1]
	v_mov_b64_e32 v[0:1], s[2:3]
	v_lshl_add_u64 v[24:25], v[2:3], 3, s[10:11]
	v_mov_b64_e32 v[2:3], s[2:3]
	v_mov_b64_e32 v[10:11], s[2:3]
	;; [unrolled: 1-line block ×6, first 2 shown]
                                        ; implicit-def: $vgpr4
                                        ; implicit-def: $vgpr12
                                        ; implicit-def: $vgpr22
                                        ; implicit-def: $vgpr20
                                        ; implicit-def: $vgpr28
                                        ; implicit-def: $vgpr14
                                        ; implicit-def: $vgpr6
	s_xor_b64 exec, exec, s[0:1]
	s_cbranch_execz .LBB0_13
; %bb.12:
	v_mad_u64_u32 v[0:1], s[2:3], s8, v37, 0
	v_mov_b32_e32 v2, v1
	v_mad_u64_u32 v[2:3], s[2:3], s9, v37, v[2:3]
	v_mov_b32_e32 v1, v2
	v_add_u32_e32 v3, 0x188, v37
	v_lshl_add_u64 v[8:9], v[0:1], 3, v[24:25]
	v_mad_u64_u32 v[0:1], s[2:3], s8, v3, 0
	v_mov_b32_e32 v2, v1
	v_mad_u64_u32 v[2:3], s[2:3], s9, v3, v[2:3]
	v_mov_b32_e32 v1, v2
	v_lshl_add_u64 v[10:11], v[0:1], 3, v[24:25]
	v_mad_u64_u32 v[0:1], s[2:3], s8, v36, 0
	v_mov_b32_e32 v2, v1
	v_mad_u64_u32 v[2:3], s[2:3], s9, v36, v[2:3]
	v_mov_b32_e32 v1, v2
	v_or_b32_e32 v3, 0x1c0, v37
	v_lshl_add_u64 v[12:13], v[0:1], 3, v[24:25]
	v_mad_u64_u32 v[0:1], s[2:3], s8, v3, 0
	v_mov_b32_e32 v2, v1
	v_mad_u64_u32 v[2:3], s[2:3], s9, v3, v[2:3]
	v_mov_b32_e32 v1, v2
	v_add_u32_e32 v30, 0x70, v37
	v_lshl_add_u64 v[14:15], v[0:1], 3, v[24:25]
	global_load_dwordx2 v[0:1], v[8:9], off
	global_load_dwordx2 v[4:5], v[10:11], off
	;; [unrolled: 1-line block ×4, first 2 shown]
	v_mad_u64_u32 v[8:9], s[2:3], s8, v30, 0
	v_mov_b32_e32 v10, v9
	v_mad_u64_u32 v[10:11], s[2:3], s9, v30, v[10:11]
	v_mov_b32_e32 v9, v10
	v_add_u32_e32 v11, 0x1f8, v37
	v_lshl_add_u64 v[16:17], v[8:9], 3, v[24:25]
	v_mad_u64_u32 v[8:9], s[2:3], s8, v11, 0
	v_mov_b32_e32 v10, v9
	v_mad_u64_u32 v[10:11], s[2:3], s9, v11, v[10:11]
	v_mov_b32_e32 v9, v10
	v_add_u32_e32 v31, 0xa8, v37
	v_lshl_add_u64 v[18:19], v[8:9], 3, v[24:25]
	v_mad_u64_u32 v[8:9], s[2:3], s8, v31, 0
	v_mov_b32_e32 v10, v9
	v_mad_u64_u32 v[10:11], s[2:3], s9, v31, v[10:11]
	v_mov_b32_e32 v9, v10
	v_add_u32_e32 v11, 0x230, v37
	v_lshl_add_u64 v[20:21], v[8:9], 3, v[24:25]
	v_mad_u64_u32 v[8:9], s[2:3], s8, v11, 0
	v_mov_b32_e32 v10, v9
	v_mad_u64_u32 v[10:11], s[2:3], s9, v11, v[10:11]
	v_mov_b32_e32 v9, v10
	v_add_u32_e32 v32, 0xe0, v37
	v_lshl_add_u64 v[22:23], v[8:9], 3, v[24:25]
	global_load_dwordx2 v[10:11], v[16:17], off
	global_load_dwordx2 v[14:15], v[18:19], off
	global_load_dwordx2 v[8:9], v[20:21], off
	global_load_dwordx2 v[12:13], v[22:23], off
	v_mad_u64_u32 v[16:17], s[2:3], s8, v32, 0
	v_mov_b32_e32 v18, v17
	v_mad_u64_u32 v[18:19], s[2:3], s9, v32, v[18:19]
	v_mov_b32_e32 v17, v18
	v_add_u32_e32 v19, 0x268, v37
	v_lshl_add_u64 v[26:27], v[16:17], 3, v[24:25]
	v_mad_u64_u32 v[16:17], s[2:3], s8, v19, 0
	v_mov_b32_e32 v18, v17
	v_mad_u64_u32 v[18:19], s[2:3], s9, v19, v[18:19]
	v_mov_b32_e32 v17, v18
	v_add_u32_e32 v33, 0x118, v37
	v_lshl_add_u64 v[28:29], v[16:17], 3, v[24:25]
	;; [unrolled: 6-line block ×3, first 2 shown]
	v_mad_u64_u32 v[16:17], s[2:3], s8, v19, 0
	v_mov_b32_e32 v18, v17
	v_mad_u64_u32 v[18:19], s[2:3], s9, v19, v[18:19]
	v_mov_b32_e32 v17, v18
	v_lshl_add_u64 v[38:39], v[16:17], 3, v[24:25]
	global_load_dwordx2 v[18:19], v[26:27], off
	global_load_dwordx2 v[22:23], v[28:29], off
	;; [unrolled: 1-line block ×4, first 2 shown]
	v_add_u32_e32 v34, 0x150, v37
	v_mad_u64_u32 v[26:27], s[2:3], s8, v34, 0
	v_mov_b32_e32 v28, v27
	v_mad_u64_u32 v[28:29], s[2:3], s9, v34, v[28:29]
	v_mov_b32_e32 v27, v28
	v_add_u32_e32 v29, 0x2d8, v37
	v_lshl_add_u64 v[38:39], v[26:27], 3, v[24:25]
	v_mad_u64_u32 v[26:27], s[2:3], s8, v29, 0
	v_mov_b32_e32 v28, v27
	v_mad_u64_u32 v[28:29], s[2:3], s9, v29, v[28:29]
	v_mov_b32_e32 v27, v28
	v_lshl_add_u64 v[40:41], v[26:27], 3, v[24:25]
	global_load_dwordx2 v[26:27], v[38:39], off
	global_load_dwordx2 v[28:29], v[40:41], off
	v_mov_b32_e32 v38, v36
.LBB0_13:
	s_or_b64 exec, exec, s[0:1]
	s_waitcnt vmcnt(12)
	v_sub_f32_e32 v5, v1, v5
	v_sub_f32_e32 v43, v0, v4
	v_fma_f32 v4, v1, 2.0, -v5
	s_waitcnt vmcnt(10)
	v_sub_f32_e32 v1, v2, v6
	v_sub_f32_e32 v7, v3, v7
	s_waitcnt vmcnt(8)
	v_sub_f32_e32 v15, v11, v15
	s_waitcnt vmcnt(6)
	v_sub_f32_e32 v13, v9, v13
	s_waitcnt vmcnt(4)
	v_sub_f32_e32 v23, v19, v23
	s_waitcnt vmcnt(2)
	v_sub_f32_e32 v21, v17, v21
	v_fma_f32 v42, v0, 2.0, -v43
	v_fma_f32 v0, v2, 2.0, -v1
	;; [unrolled: 1-line block ×3, first 2 shown]
	v_sub_f32_e32 v3, v10, v14
	v_fma_f32 v14, v11, 2.0, -v15
	v_sub_f32_e32 v11, v8, v12
	v_fma_f32 v12, v9, 2.0, -v13
	;; [unrolled: 2-line block ×4, first 2 shown]
	s_waitcnt vmcnt(0)
	v_sub_f32_e32 v17, v26, v28
	v_lshl_add_u32 v41, v37, 3, 0
	v_lshl_add_u32 v39, v38, 3, 0
	v_lshlrev_b32_e32 v45, 2, v37
	v_fma_f32 v2, v10, 2.0, -v3
	v_fma_f32 v10, v8, 2.0, -v11
	;; [unrolled: 1-line block ×4, first 2 shown]
	v_sub_f32_e32 v29, v27, v29
	v_fma_f32 v16, v26, 2.0, -v17
	ds_write_b64 v41, v[42:43]
	ds_write_b64 v39, v[0:1]
	v_lshl_add_u32 v26, v31, 3, 0
	v_sub_u32_e32 v52, v41, v45
	v_lshlrev_b32_e32 v0, 2, v31
	v_fma_f32 v28, v27, 2.0, -v29
	v_lshl_add_u32 v42, v30, 3, 0
	v_lshl_add_u32 v43, v32, 3, 0
	;; [unrolled: 1-line block ×4, first 2 shown]
	v_add_u32_e32 v49, 0x400, v52
	v_lshlrev_b32_e32 v40, 2, v38
	v_lshlrev_b32_e32 v46, 2, v30
	v_sub_u32_e32 v0, v26, v0
	v_lshlrev_b32_e32 v47, 2, v32
	v_lshlrev_b32_e32 v1, 2, v33
	;; [unrolled: 1-line block ×3, first 2 shown]
	ds_write_b64 v42, v[2:3]
	ds_write_b64 v26, v[10:11]
	;; [unrolled: 1-line block ×5, first 2 shown]
	s_waitcnt lgkmcnt(0)
	; wave barrier
	s_waitcnt lgkmcnt(0)
	ds_read_b32 v16, v52
	ds_read2_b32 v[2:3], v49 offset0:136 offset1:192
	v_sub_u32_e32 v50, v39, v40
	v_sub_u32_e32 v51, v42, v46
	v_add_u32_e32 v17, 0x600, v52
	v_sub_u32_e32 v53, v43, v47
	v_add_u32_e32 v54, 0x800, v52
	v_sub_u32_e32 v1, v27, v1
	v_sub_u32_e32 v55, v44, v48
	ds_read_b32 v18, v0
	ds_read_b32 v19, v53
	;; [unrolled: 1-line block ×6, first 2 shown]
	ds_read_b32 v59, v52 offset:2912
	ds_read2_b32 v[8:9], v17 offset0:120 offset1:176
	ds_read2_b32 v[10:11], v54 offset0:104 offset1:160
	s_waitcnt lgkmcnt(0)
	; wave barrier
	s_waitcnt lgkmcnt(0)
	ds_write_b64 v41, v[4:5]
	ds_write_b64 v39, v[6:7]
	;; [unrolled: 1-line block ×7, first 2 shown]
	v_and_b32_e32 v20, 1, v37
	v_lshlrev_b32_e32 v4, 3, v20
	s_waitcnt lgkmcnt(0)
	; wave barrier
	s_waitcnt lgkmcnt(0)
	global_load_dwordx2 v[4:5], v4, s[4:5]
	ds_read2_b32 v[6:7], v49 offset0:136 offset1:192
	ds_read2_b32 v[12:13], v17 offset0:120 offset1:176
	;; [unrolled: 1-line block ×3, first 2 shown]
	ds_read_b32 v23, v52 offset:2912
	s_movk_i32 s0, 0x7c
	v_lshlrev_b32_e32 v30, 1, v30
	v_lshlrev_b32_e32 v31, 1, v31
	;; [unrolled: 1-line block ×3, first 2 shown]
	s_movk_i32 s1, 0x2fc
	s_movk_i32 s2, 0x2f0
	s_mov_b32 s3, 0xbf3bfb3b
	s_mov_b32 s6, 0xbeae86e6
	;; [unrolled: 1-line block ×6, first 2 shown]
	s_waitcnt vmcnt(0) lgkmcnt(3)
	v_mul_f32_e32 v21, v6, v5
	v_fma_f32 v21, v2, v4, -v21
	v_mul_f32_e32 v2, v2, v5
	v_fmac_f32_e32 v2, v6, v4
	v_mul_f32_e32 v6, v7, v5
	v_mul_f32_e32 v22, v3, v5
	v_fma_f32 v6, v3, v4, -v6
	v_fmac_f32_e32 v22, v7, v4
	s_waitcnt lgkmcnt(2)
	v_mul_f32_e32 v3, v12, v5
	v_mul_f32_e32 v7, v13, v5
	v_fma_f32 v3, v8, v4, -v3
	v_mul_f32_e32 v8, v8, v5
	v_fma_f32 v7, v9, v4, -v7
	v_mul_f32_e32 v9, v9, v5
	v_fmac_f32_e32 v8, v12, v4
	v_fmac_f32_e32 v9, v13, v4
	s_waitcnt lgkmcnt(1)
	v_mul_f32_e32 v12, v14, v5
	v_mul_f32_e32 v13, v15, v5
	s_waitcnt lgkmcnt(0)
	v_mul_f32_e32 v61, v23, v5
	v_fma_f32 v12, v10, v4, -v12
	v_mul_f32_e32 v10, v10, v5
	v_fma_f32 v13, v11, v4, -v13
	;; [unrolled: 2-line block ×3, first 2 shown]
	v_mul_f32_e32 v59, v59, v5
	v_fmac_f32_e32 v10, v14, v4
	v_fmac_f32_e32 v11, v15, v4
	;; [unrolled: 1-line block ×3, first 2 shown]
	v_sub_f32_e32 v4, v16, v21
	v_fma_f32 v5, v16, 2.0, -v4
	v_lshlrev_b32_e32 v16, 1, v37
	v_and_or_b32 v21, v16, s0, v20
	v_lshl_add_u32 v21, v21, 2, 0
	s_movk_i32 s0, 0xfc
	v_lshlrev_b32_e32 v23, 1, v38
	ds_read_b32 v14, v0
	ds_read_b32 v15, v53
	;; [unrolled: 1-line block ×7, first 2 shown]
	s_waitcnt lgkmcnt(0)
	; wave barrier
	s_waitcnt lgkmcnt(0)
	ds_write2_b32 v21, v5, v4 offset1:2
	v_sub_f32_e32 v4, v58, v6
	v_and_or_b32 v6, v23, s0, v20
	v_fma_f32 v5, v58, 2.0, -v4
	v_lshl_add_u32 v58, v6, 2, 0
	s_movk_i32 s0, 0x1fc
	ds_write2_b32 v58, v5, v4 offset1:2
	v_sub_f32_e32 v3, v57, v3
	v_and_or_b32 v5, v30, s0, v20
	v_fma_f32 v4, v57, 2.0, -v3
	v_lshl_add_u32 v57, v5, 2, 0
	ds_write2_b32 v57, v4, v3 offset1:2
	v_sub_f32_e32 v3, v18, v7
	v_and_or_b32 v5, v31, s0, v20
	v_fma_f32 v4, v18, 2.0, -v3
	v_lshl_add_u32 v18, v5, 2, 0
	s_movk_i32 s0, 0x3fc
	ds_write2_b32 v18, v4, v3 offset1:2
	v_sub_f32_e32 v3, v19, v12
	v_and_or_b32 v5, v32, s0, v20
	v_fma_f32 v4, v19, 2.0, -v3
	v_lshl_add_u32 v12, v5, 2, 0
	v_lshlrev_b32_e32 v19, 1, v33
	ds_write2_b32 v12, v4, v3 offset1:2
	v_sub_f32_e32 v3, v35, v13
	v_and_or_b32 v5, v19, s1, v20
	v_fma_f32 v4, v35, 2.0, -v3
	v_lshl_add_u32 v13, v5, 2, 0
	v_lshlrev_b32_e32 v33, 1, v34
	ds_write2_b32 v13, v4, v3 offset1:2
	v_sub_f32_e32 v34, v60, v2
	v_sub_f32_e32 v2, v56, v61
	v_and_or_b32 v4, v33, s0, v20
	v_fma_f32 v35, v60, 2.0, -v34
	v_fma_f32 v3, v56, 2.0, -v2
	v_lshl_add_u32 v20, v4, 2, 0
	ds_write2_b32 v20, v3, v2 offset1:2
	s_waitcnt lgkmcnt(0)
	; wave barrier
	s_waitcnt lgkmcnt(0)
	ds_read_b32 v56, v52
	ds_read_b32 v60, v0
	;; [unrolled: 1-line block ×7, first 2 shown]
	ds_read_b32 v66, v52 offset:2912
	ds_read2_b32 v[2:3], v49 offset0:136 offset1:192
	ds_read2_b32 v[4:5], v17 offset0:120 offset1:176
	;; [unrolled: 1-line block ×3, first 2 shown]
	s_waitcnt lgkmcnt(0)
	; wave barrier
	s_waitcnt lgkmcnt(0)
	ds_write2_b32 v21, v35, v34 offset1:2
	v_sub_f32_e32 v21, v29, v22
	v_fma_f32 v22, v29, 2.0, -v21
	v_sub_f32_e32 v8, v28, v8
	ds_write2_b32 v58, v22, v21 offset1:2
	v_fma_f32 v21, v28, 2.0, -v8
	ds_write2_b32 v57, v21, v8 offset1:2
	v_sub_f32_e32 v8, v14, v9
	v_fma_f32 v9, v14, 2.0, -v8
	ds_write2_b32 v18, v9, v8 offset1:2
	v_sub_f32_e32 v8, v15, v10
	v_fma_f32 v9, v15, 2.0, -v8
	v_sub_f32_e32 v10, v26, v11
	v_sub_f32_e32 v14, v27, v59
	v_fma_f32 v11, v26, 2.0, -v10
	v_fma_f32 v15, v27, 2.0, -v14
	ds_write2_b32 v12, v9, v8 offset1:2
	ds_write2_b32 v13, v11, v10 offset1:2
	;; [unrolled: 1-line block ×3, first 2 shown]
	v_and_b32_e32 v14, 3, v37
	v_lshlrev_b32_e32 v8, 3, v14
	s_waitcnt lgkmcnt(0)
	; wave barrier
	s_waitcnt lgkmcnt(0)
	global_load_dwordx2 v[8:9], v8, s[4:5] offset:16
	ds_read2_b32 v[10:11], v49 offset0:136 offset1:192
	ds_read2_b32 v[12:13], v17 offset0:120 offset1:176
	s_movk_i32 s0, 0x78
	s_movk_i32 s1, 0x2f8
	s_waitcnt vmcnt(0) lgkmcnt(1)
	v_mul_f32_e32 v15, v10, v9
	v_fma_f32 v15, v2, v8, -v15
	v_mul_f32_e32 v18, v2, v9
	v_mul_f32_e32 v2, v11, v9
	v_fmac_f32_e32 v18, v10, v8
	v_fma_f32 v10, v3, v8, -v2
	v_mul_f32_e32 v20, v3, v9
	s_waitcnt lgkmcnt(0)
	v_mul_f32_e32 v2, v12, v9
	v_fmac_f32_e32 v20, v11, v8
	v_fma_f32 v11, v4, v8, -v2
	ds_read2_b32 v[2:3], v54 offset0:104 offset1:160
	v_mul_f32_e32 v21, v4, v9
	v_mul_f32_e32 v4, v13, v9
	v_fmac_f32_e32 v21, v12, v8
	v_fma_f32 v4, v5, v8, -v4
	v_mul_f32_e32 v12, v5, v9
	s_waitcnt lgkmcnt(0)
	v_mul_f32_e32 v5, v2, v9
	v_mul_f32_e32 v22, v6, v9
	;; [unrolled: 1-line block ×3, first 2 shown]
	v_fmac_f32_e32 v12, v13, v8
	v_fma_f32 v5, v6, v8, -v5
	v_mul_f32_e32 v13, v3, v9
	v_fmac_f32_e32 v22, v2, v8
	v_fmac_f32_e32 v26, v3, v8
	ds_read_b32 v2, v52 offset:2912
	ds_read_b32 v27, v0
	ds_read_b32 v28, v53
	ds_read_b32 v29, v1
	ds_read_b32 v34, v55
	ds_read_b32 v35, v51
	ds_read_b32 v57, v50
	ds_read_b32 v3, v52
	s_waitcnt lgkmcnt(7)
	v_mul_f32_e32 v6, v2, v9
	v_mul_f32_e32 v9, v66, v9
	v_fma_f32 v13, v7, v8, -v13
	v_fma_f32 v6, v66, v8, -v6
	v_fmac_f32_e32 v9, v2, v8
	v_sub_f32_e32 v2, v56, v15
	v_and_or_b32 v8, v16, s0, v14
	v_fma_f32 v7, v56, 2.0, -v2
	v_lshl_add_u32 v8, v8, 2, 0
	s_movk_i32 s0, 0xf8
	s_waitcnt lgkmcnt(0)
	; wave barrier
	s_waitcnt lgkmcnt(0)
	ds_write2_b32 v8, v7, v2 offset1:4
	v_sub_f32_e32 v2, v65, v10
	v_and_or_b32 v10, v23, s0, v14
	v_fma_f32 v7, v65, 2.0, -v2
	v_lshl_add_u32 v10, v10, 2, 0
	s_movk_i32 s0, 0x1f8
	ds_write2_b32 v10, v7, v2 offset1:4
	v_sub_f32_e32 v2, v64, v11
	v_and_or_b32 v11, v30, s0, v14
	v_fma_f32 v7, v64, 2.0, -v2
	v_lshl_add_u32 v11, v11, 2, 0
	ds_write2_b32 v11, v7, v2 offset1:4
	v_sub_f32_e32 v2, v60, v4
	v_and_or_b32 v7, v31, s0, v14
	v_fma_f32 v4, v60, 2.0, -v2
	v_lshl_add_u32 v15, v7, 2, 0
	s_movk_i32 s0, 0x3f8
	ds_write2_b32 v15, v4, v2 offset1:4
	v_sub_f32_e32 v2, v61, v5
	v_and_or_b32 v5, v32, s0, v14
	v_fma_f32 v4, v61, 2.0, -v2
	v_lshl_add_u32 v56, v5, 2, 0
	ds_write2_b32 v56, v4, v2 offset1:4
	v_sub_f32_e32 v2, v62, v13
	v_and_or_b32 v5, v19, s1, v14
	v_fma_f32 v4, v62, 2.0, -v2
	v_lshl_add_u32 v13, v5, 2, 0
	ds_write2_b32 v13, v4, v2 offset1:4
	v_sub_f32_e32 v18, v3, v18
	v_sub_f32_e32 v2, v63, v6
	v_and_or_b32 v4, v33, s0, v14
	v_fma_f32 v58, v3, 2.0, -v18
	v_fma_f32 v3, v63, 2.0, -v2
	v_lshl_add_u32 v14, v4, 2, 0
	ds_write2_b32 v14, v3, v2 offset1:4
	s_waitcnt lgkmcnt(0)
	; wave barrier
	s_waitcnt lgkmcnt(0)
	ds_read_b32 v59, v52
	ds_read_b32 v60, v0
	;; [unrolled: 1-line block ×7, first 2 shown]
	ds_read_b32 v66, v52 offset:2912
	ds_read2_b32 v[2:3], v49 offset0:136 offset1:192
	ds_read2_b32 v[4:5], v17 offset0:120 offset1:176
	ds_read2_b32 v[6:7], v54 offset0:104 offset1:160
	s_waitcnt lgkmcnt(0)
	; wave barrier
	s_waitcnt lgkmcnt(0)
	ds_write2_b32 v8, v58, v18 offset1:4
	v_sub_f32_e32 v8, v57, v20
	v_fma_f32 v18, v57, 2.0, -v8
	ds_write2_b32 v10, v18, v8 offset1:4
	v_sub_f32_e32 v8, v35, v21
	v_fma_f32 v10, v35, 2.0, -v8
	;; [unrolled: 3-line block ×4, first 2 shown]
	v_sub_f32_e32 v11, v29, v26
	v_sub_f32_e32 v9, v34, v9
	v_fma_f32 v12, v29, 2.0, -v11
	v_fma_f32 v15, v34, 2.0, -v9
	ds_write2_b32 v56, v10, v8 offset1:4
	ds_write2_b32 v13, v12, v11 offset1:4
	;; [unrolled: 1-line block ×3, first 2 shown]
	v_and_b32_e32 v14, 7, v37
	v_lshlrev_b32_e32 v8, 3, v14
	s_waitcnt lgkmcnt(0)
	; wave barrier
	s_waitcnt lgkmcnt(0)
	global_load_dwordx2 v[8:9], v8, s[4:5] offset:48
	ds_read2_b32 v[10:11], v49 offset0:136 offset1:192
	ds_read2_b32 v[12:13], v17 offset0:120 offset1:176
	s_movk_i32 s1, 0x70
	s_movk_i32 s0, 0xf0
	v_and_or_b32 v23, v23, s0, v14
	v_lshl_add_u32 v23, v23, 2, 0
	s_movk_i32 s0, 0x1f0
	v_and_b32_e32 v58, 15, v38
	s_waitcnt vmcnt(0) lgkmcnt(1)
	v_mul_f32_e32 v15, v10, v9
	v_fma_f32 v15, v2, v8, -v15
	v_mul_f32_e32 v17, v2, v9
	v_mul_f32_e32 v2, v11, v9
	v_fmac_f32_e32 v17, v10, v8
	v_fma_f32 v10, v3, v8, -v2
	v_mul_f32_e32 v18, v3, v9
	s_waitcnt lgkmcnt(0)
	v_mul_f32_e32 v2, v12, v9
	v_fmac_f32_e32 v18, v11, v8
	v_fma_f32 v11, v4, v8, -v2
	ds_read2_b32 v[2:3], v54 offset0:104 offset1:160
	v_mul_f32_e32 v20, v13, v9
	v_mul_f32_e32 v4, v4, v9
	v_fma_f32 v20, v5, v8, -v20
	v_mul_f32_e32 v5, v5, v9
	v_fmac_f32_e32 v4, v12, v8
	v_fmac_f32_e32 v5, v13, v8
	s_waitcnt lgkmcnt(0)
	v_mul_f32_e32 v12, v2, v9
	v_mul_f32_e32 v13, v3, v9
	v_fma_f32 v12, v6, v8, -v12
	v_fma_f32 v13, v7, v8, -v13
	v_mul_f32_e32 v6, v6, v9
	v_mul_f32_e32 v7, v7, v9
	v_fmac_f32_e32 v6, v2, v8
	v_fmac_f32_e32 v7, v3, v8
	ds_read_b32 v2, v52 offset:2912
	ds_read_b32 v0, v0
	ds_read_b32 v3, v53
	;; [unrolled: 1-line block ×7, first 2 shown]
	s_waitcnt lgkmcnt(7)
	v_mul_f32_e32 v27, v2, v9
	v_mul_f32_e32 v9, v66, v9
	v_fmac_f32_e32 v9, v2, v8
	v_sub_f32_e32 v2, v59, v15
	v_and_or_b32 v15, v16, s1, v14
	v_sub_f32_e32 v10, v65, v10
	v_fma_f32 v27, v66, v8, -v27
	v_fma_f32 v8, v59, 2.0, -v2
	v_lshl_add_u32 v15, v15, 2, 0
	v_fma_f32 v16, v65, 2.0, -v10
	s_waitcnt lgkmcnt(0)
	; wave barrier
	s_waitcnt lgkmcnt(0)
	ds_write2_b32 v15, v8, v2 offset1:8
	v_sub_f32_e32 v11, v64, v11
	ds_write2_b32 v23, v16, v10 offset1:8
	v_and_or_b32 v10, v30, s0, v14
	v_sub_f32_e32 v2, v26, v17
	v_fma_f32 v17, v64, 2.0, -v11
	v_lshl_add_u32 v10, v10, 2, 0
	ds_write2_b32 v10, v17, v11 offset1:8
	v_and_or_b32 v11, v31, s0, v14
	s_movk_i32 s0, 0x3f0
	v_sub_f32_e32 v20, v60, v20
	v_sub_f32_e32 v12, v61, v12
	v_and_or_b32 v16, v32, s0, v14
	v_fma_f32 v8, v26, 2.0, -v2
	v_fma_f32 v26, v60, 2.0, -v20
	;; [unrolled: 1-line block ×3, first 2 shown]
	v_lshl_add_u32 v11, v11, 2, 0
	v_lshl_add_u32 v16, v16, 2, 0
	v_sub_f32_e32 v13, v62, v13
	ds_write2_b32 v11, v26, v20 offset1:8
	ds_write2_b32 v16, v28, v12 offset1:8
	v_and_or_b32 v12, v19, s2, v14
	v_fma_f32 v29, v62, 2.0, -v13
	v_lshl_add_u32 v12, v12, 2, 0
	v_sub_f32_e32 v27, v63, v27
	ds_write2_b32 v12, v29, v13 offset1:8
	v_and_or_b32 v13, v33, s0, v14
	v_fma_f32 v34, v63, 2.0, -v27
	v_lshl_add_u32 v13, v13, 2, 0
	ds_write2_b32 v13, v34, v27 offset1:8
	s_waitcnt lgkmcnt(0)
	; wave barrier
	s_waitcnt lgkmcnt(0)
	ds_read2_b32 v[26:27], v52 offset1:168
	ds_read_b32 v59, v55
	ds_read2_b32 v[30:31], v49 offset0:192 offset1:248
	ds_read2_b32 v[34:35], v54 offset0:48 offset1:104
	;; [unrolled: 1-line block ×3, first 2 shown]
	ds_read_b32 v62, v53
	ds_read_b32 v63, v51
	;; [unrolled: 1-line block ×3, first 2 shown]
	ds_read2_b32 v[28:29], v49 offset0:24 offset1:136
	s_waitcnt lgkmcnt(0)
	; wave barrier
	s_waitcnt lgkmcnt(0)
	ds_write2_b32 v15, v8, v2 offset1:8
	v_sub_f32_e32 v2, v56, v18
	v_sub_f32_e32 v5, v0, v5
	v_fma_f32 v8, v56, 2.0, -v2
	v_sub_f32_e32 v4, v22, v4
	v_fma_f32 v0, v0, 2.0, -v5
	v_sub_f32_e32 v6, v3, v6
	v_sub_f32_e32 v7, v1, v7
	;; [unrolled: 1-line block ×3, first 2 shown]
	v_and_b32_e32 v56, 15, v37
	v_fma_f32 v14, v22, 2.0, -v4
	v_fma_f32 v3, v3, 2.0, -v6
	;; [unrolled: 1-line block ×4, first 2 shown]
	ds_write2_b32 v23, v8, v2 offset1:8
	ds_write2_b32 v10, v14, v4 offset1:8
	;; [unrolled: 1-line block ×6, first 2 shown]
	v_mul_u32_u24_e32 v0, 6, v56
	v_lshlrev_b32_e32 v12, 3, v0
	s_waitcnt lgkmcnt(0)
	; wave barrier
	s_waitcnt lgkmcnt(0)
	global_load_dwordx4 v[8:11], v12, s[4:5] offset:112
	global_load_dwordx4 v[4:7], v12, s[4:5] offset:128
	;; [unrolled: 1-line block ×3, first 2 shown]
	v_mul_u32_u24_e32 v12, 6, v58
	v_lshlrev_b32_e32 v60, 3, v12
	global_load_dwordx4 v[12:15], v60, s[4:5] offset:144
	global_load_dwordx4 v[16:19], v60, s[4:5] offset:128
	;; [unrolled: 1-line block ×3, first 2 shown]
	ds_read_b32 v64, v51
	ds_read_b32 v65, v53
	;; [unrolled: 1-line block ×3, first 2 shown]
	ds_read2_b32 v[60:61], v49 offset0:192 offset1:248
	ds_read_b32 v67, v50
	s_mov_b32 s0, 0x3f3bfb3b
	s_mov_b32 s2, 0x3f5ff5aa
	s_waitcnt vmcnt(5) lgkmcnt(4)
	v_mul_f32_e32 v68, v64, v9
	v_fma_f32 v68, v63, v8, -v68
	v_mul_f32_e32 v63, v63, v9
	v_fmac_f32_e32 v63, v64, v8
	s_waitcnt lgkmcnt(3)
	v_mul_f32_e32 v8, v65, v11
	v_fma_f32 v64, v62, v10, -v8
	v_mul_f32_e32 v62, v62, v11
	v_fmac_f32_e32 v62, v65, v10
	ds_read2_b32 v[8:9], v54 offset0:48 offset1:104
	ds_read2_b32 v[10:11], v54 offset0:160 offset1:216
	s_waitcnt vmcnt(4) lgkmcnt(4)
	v_mul_f32_e32 v65, v66, v5
	v_mul_f32_e32 v5, v59, v5
	v_fma_f32 v65, v59, v4, -v65
	v_fmac_f32_e32 v5, v66, v4
	s_waitcnt lgkmcnt(3)
	v_mul_f32_e32 v4, v60, v7
	v_mul_f32_e32 v7, v30, v7
	v_fma_f32 v4, v30, v6, -v4
	v_fmac_f32_e32 v7, v60, v6
	s_waitcnt vmcnt(3) lgkmcnt(1)
	v_mul_f32_e32 v6, v8, v1
	v_mul_f32_e32 v30, v34, v1
	v_fma_f32 v6, v34, v0, -v6
	v_fmac_f32_e32 v30, v8, v0
	s_waitcnt lgkmcnt(0)
	v_mul_f32_e32 v0, v10, v3
	v_fma_f32 v8, v32, v2, -v0
	v_mul_f32_e32 v32, v32, v3
	s_waitcnt vmcnt(2)
	v_mul_f32_e32 v0, v9, v13
	v_fmac_f32_e32 v32, v10, v2
	v_fma_f32 v10, v35, v12, -v0
	v_mul_f32_e32 v13, v35, v13
	v_mul_f32_e32 v0, v11, v15
	v_fmac_f32_e32 v13, v9, v12
	v_fma_f32 v9, v33, v14, -v0
	ds_read2_b32 v[0:1], v49 offset0:24 offset1:136
	v_mul_f32_e32 v12, v33, v15
	s_waitcnt vmcnt(1)
	v_mul_f32_e32 v2, v61, v19
	v_fmac_f32_e32 v12, v11, v14
	v_fma_f32 v11, v31, v18, -v2
	s_waitcnt lgkmcnt(0)
	v_mul_f32_e32 v2, v1, v17
	v_fma_f32 v15, v29, v16, -v2
	ds_read2_b32 v[2:3], v52 offset1:168
	v_mul_f32_e32 v14, v31, v19
	v_mul_f32_e32 v17, v29, v17
	v_fmac_f32_e32 v14, v61, v18
	v_fmac_f32_e32 v17, v1, v16
	s_waitcnt vmcnt(0)
	v_mul_f32_e32 v1, v0, v23
	v_mul_f32_e32 v16, v28, v23
	;; [unrolled: 1-line block ×3, first 2 shown]
	v_fma_f32 v1, v28, v22, -v1
	v_fmac_f32_e32 v16, v0, v22
	s_waitcnt lgkmcnt(0)
	v_mul_f32_e32 v0, v3, v21
	v_fmac_f32_e32 v18, v3, v20
	v_add_f32_e32 v3, v68, v8
	v_add_f32_e32 v19, v63, v32
	;; [unrolled: 1-line block ×4, first 2 shown]
	v_fma_f32 v0, v27, v20, -v0
	v_sub_f32_e32 v6, v64, v6
	v_add_f32_e32 v27, v65, v4
	v_add_f32_e32 v28, v5, v7
	v_sub_f32_e32 v4, v4, v65
	v_sub_f32_e32 v5, v7, v5
	v_add_f32_e32 v7, v21, v3
	v_add_f32_e32 v29, v22, v19
	v_sub_f32_e32 v8, v68, v8
	v_sub_f32_e32 v23, v62, v30
	;; [unrolled: 1-line block ×5, first 2 shown]
	v_add_f32_e32 v7, v27, v7
	v_sub_f32_e32 v27, v22, v19
	v_sub_f32_e32 v19, v19, v28
	;; [unrolled: 1-line block ×3, first 2 shown]
	v_add_f32_e32 v28, v28, v29
	v_add_f32_e32 v29, v4, v6
	v_sub_f32_e32 v20, v63, v32
	v_sub_f32_e32 v31, v4, v6
	;; [unrolled: 1-line block ×4, first 2 shown]
	v_add_f32_e32 v8, v29, v8
	v_add_f32_e32 v29, v5, v23
	v_sub_f32_e32 v32, v5, v23
	v_sub_f32_e32 v5, v20, v5
	;; [unrolled: 1-line block ×3, first 2 shown]
	v_add_f32_e32 v20, v29, v20
	v_add_f32_e32 v29, v2, v28
	v_mul_f32_e32 v2, 0x3f4a47b2, v3
	v_mul_f32_e32 v3, 0x3f4a47b2, v19
	;; [unrolled: 1-line block ×3, first 2 shown]
	v_fma_f32 v19, v30, s0, -v19
	v_fma_f32 v30, v30, s3, -v2
	v_fmac_f32_e32 v2, 0x3d64c772, v21
	v_mul_f32_e32 v21, 0x3d64c772, v22
	v_mul_f32_e32 v31, 0xbf08b237, v31
	v_fma_f32 v21, v27, s0, -v21
	v_fma_f32 v27, v27, s3, -v3
	v_fmac_f32_e32 v3, 0x3d64c772, v22
	v_mul_f32_e32 v22, 0x3f5ff5aa, v6
	v_add_f32_e32 v26, v26, v7
	v_mul_f32_e32 v32, 0xbf08b237, v32
	v_fma_f32 v6, v6, s2, -v31
	v_fmac_f32_e32 v31, 0x3eae86e6, v4
	v_fma_f32 v4, v4, s6, -v22
	v_mul_f32_e32 v22, 0x3f5ff5aa, v23
	v_fmamk_f32 v7, v7, 0xbf955555, v26
	v_fmamk_f32 v28, v28, 0xbf955555, v29
	v_fma_f32 v23, v23, s2, -v32
	v_fmac_f32_e32 v32, 0x3eae86e6, v5
	v_fma_f32 v5, v5, s6, -v22
	v_add_f32_e32 v2, v2, v7
	v_add_f32_e32 v3, v3, v28
	;; [unrolled: 1-line block ×4, first 2 shown]
	v_fmac_f32_e32 v31, 0x3ee1c552, v8
	v_fmac_f32_e32 v5, 0x3ee1c552, v20
	v_add_f32_e32 v21, v21, v28
	v_add_f32_e32 v22, v27, v28
	v_fmac_f32_e32 v32, 0x3ee1c552, v20
	v_fmac_f32_e32 v6, 0x3ee1c552, v8
	v_fmac_f32_e32 v23, 0x3ee1c552, v20
	v_fmac_f32_e32 v4, 0x3ee1c552, v8
	v_sub_f32_e32 v20, v3, v31
	v_add_f32_e32 v27, v5, v7
	v_sub_f32_e32 v5, v7, v5
	v_add_f32_e32 v31, v31, v3
	v_add_f32_e32 v3, v0, v9
	v_add_f32_e32 v7, v1, v10
	v_sub_f32_e32 v28, v22, v4
	v_sub_f32_e32 v30, v19, v23
	v_add_f32_e32 v19, v23, v19
	v_add_f32_e32 v23, v6, v21
	v_sub_f32_e32 v33, v21, v6
	v_add_f32_e32 v34, v4, v22
	v_add_f32_e32 v4, v18, v12
	v_sub_f32_e32 v0, v0, v9
	v_sub_f32_e32 v6, v18, v12
	v_add_f32_e32 v9, v16, v13
	v_sub_f32_e32 v1, v1, v10
	v_sub_f32_e32 v10, v16, v13
	v_add_f32_e32 v12, v15, v11
	v_add_f32_e32 v13, v17, v14
	v_sub_f32_e32 v11, v11, v15
	v_sub_f32_e32 v14, v14, v17
	v_add_f32_e32 v15, v7, v3
	v_add_f32_e32 v16, v9, v4
	v_sub_f32_e32 v17, v7, v3
	v_sub_f32_e32 v3, v3, v12
	;; [unrolled: 1-line block ×3, first 2 shown]
	v_add_f32_e32 v21, v11, v1
	v_add_f32_e32 v12, v12, v15
	;; [unrolled: 1-line block ×3, first 2 shown]
	v_sub_f32_e32 v18, v9, v4
	v_sub_f32_e32 v4, v4, v13
	v_sub_f32_e32 v9, v13, v9
	v_add_f32_e32 v13, v13, v16
	v_sub_f32_e32 v16, v11, v1
	v_sub_f32_e32 v11, v0, v11
	v_sub_f32_e32 v1, v1, v0
	v_add_f32_e32 v0, v21, v0
	;; [unrolled: 4-line block ×3, first 2 shown]
	v_mul_f32_e32 v3, 0x3f4a47b2, v3
	v_mul_f32_e32 v15, 0x3d64c772, v7
	;; [unrolled: 1-line block ×3, first 2 shown]
	v_fma_f32 v15, v17, s0, -v15
	v_fma_f32 v17, v17, s3, -v3
	v_fmac_f32_e32 v3, 0x3d64c772, v7
	v_mul_f32_e32 v7, 0x3d64c772, v9
	v_mul_f32_e32 v16, 0xbf08b237, v16
	v_fma_f32 v7, v18, s0, -v7
	v_fma_f32 v18, v18, s3, -v4
	v_fmac_f32_e32 v4, 0x3d64c772, v9
	v_mul_f32_e32 v9, 0x3f5ff5aa, v1
	v_mul_f32_e32 v21, 0xbf08b237, v21
	v_fma_f32 v1, v1, s2, -v16
	v_fmac_f32_e32 v16, 0x3eae86e6, v11
	v_fma_f32 v9, v11, s6, -v9
	v_mul_f32_e32 v11, 0x3f5ff5aa, v10
	v_add_f32_e32 v8, v32, v2
	v_sub_f32_e32 v2, v2, v32
	v_fma_f32 v10, v10, s2, -v21
	v_fmac_f32_e32 v21, 0x3eae86e6, v14
	v_fma_f32 v11, v14, s6, -v11
	v_add_f32_e32 v14, v57, v12
	v_add_f32_e32 v32, v67, v13
	v_fmamk_f32 v12, v12, 0xbf955555, v14
	v_fmamk_f32 v13, v13, 0xbf955555, v32
	v_add_f32_e32 v3, v3, v12
	v_add_f32_e32 v4, v4, v13
	;; [unrolled: 1-line block ×6, first 2 shown]
	v_fmac_f32_e32 v16, 0x3ee1c552, v0
	v_fmac_f32_e32 v1, 0x3ee1c552, v0
	;; [unrolled: 1-line block ×6, first 2 shown]
	v_sub_f32_e32 v17, v4, v16
	v_add_f32_e32 v6, v11, v12
	v_sub_f32_e32 v18, v15, v10
	v_add_f32_e32 v10, v10, v15
	v_add_f32_e32 v15, v1, v7
	v_sub_f32_e32 v1, v7, v1
	v_sub_f32_e32 v35, v13, v9
	;; [unrolled: 1-line block ×3, first 2 shown]
	v_add_f32_e32 v12, v9, v13
	v_add_f32_e32 v13, v16, v4
	v_lshrrev_b32_e32 v4, 4, v37
	v_mul_u32_u24_e32 v4, 0x70, v4
	v_or_b32_e32 v4, v4, v56
	v_lshl_add_u32 v16, v4, 2, 0
	s_waitcnt lgkmcnt(0)
	; wave barrier
	ds_write2_b32 v16, v26, v8 offset1:16
	ds_write2_b32 v16, v27, v30 offset0:32 offset1:48
	ds_write2_b32 v16, v19, v5 offset0:64 offset1:80
	ds_write_b32 v16, v2 offset:384
	v_lshrrev_b32_e32 v2, 4, v38
	v_mul_lo_u32 v2, v2, s1
	v_or_b32_e32 v2, v2, v58
	v_add_f32_e32 v0, v21, v3
	v_sub_f32_e32 v3, v3, v21
	v_lshl_add_u32 v26, v2, 2, 0
	ds_write2_b32 v26, v14, v0 offset1:16
	ds_write2_b32 v26, v6, v18 offset0:32 offset1:48
	ds_write2_b32 v26, v10, v7 offset0:64 offset1:80
	ds_write_b32 v26, v3 offset:384
	s_waitcnt lgkmcnt(0)
	; wave barrier
	s_waitcnt lgkmcnt(0)
	ds_read2_b32 v[2:3], v52 offset1:168
	ds_read_b32 v19, v55
	ds_read2_b32 v[4:5], v49 offset0:192 offset1:248
	ds_read2_b32 v[10:11], v54 offset0:48 offset1:104
	;; [unrolled: 1-line block ×3, first 2 shown]
	ds_read_b32 v22, v53
	ds_read_b32 v21, v51
	;; [unrolled: 1-line block ×3, first 2 shown]
	ds_read2_b32 v[8:9], v49 offset0:24 offset1:136
	s_mov_b32 s6, 0x3ee1c552
	s_waitcnt lgkmcnt(0)
	; wave barrier
	s_waitcnt lgkmcnt(0)
	ds_write2_b32 v16, v29, v20 offset1:16
	ds_write2_b32 v16, v28, v23 offset0:32 offset1:48
	ds_write2_b32 v16, v33, v34 offset0:64 offset1:80
	ds_write_b32 v16, v31 offset:384
	ds_write2_b32 v26, v32, v17 offset1:16
	ds_write2_b32 v26, v35, v15 offset0:32 offset1:48
	ds_write2_b32 v26, v1, v12 offset0:64 offset1:80
	ds_write_b32 v26, v13 offset:384
	s_waitcnt lgkmcnt(0)
	; wave barrier
	s_waitcnt lgkmcnt(0)
	s_and_saveexec_b64 s[14:15], vcc
	s_cbranch_execz .LBB0_15
; %bb.14:
	v_mul_u32_u24_e32 v1, 6, v37
	v_lshlrev_b32_e32 v1, 3, v1
	global_load_dwordx4 v[26:29], v1, s[4:5] offset:880
	global_load_dwordx4 v[30:33], v1, s[4:5] offset:912
	;; [unrolled: 1-line block ×3, first 2 shown]
	v_sub_u32_e32 v1, 0, v45
	v_sub_u32_e32 v12, 0, v46
	;; [unrolled: 1-line block ×4, first 2 shown]
	v_add_u32_e32 v1, v41, v1
	v_add_u32_e32 v12, v42, v12
	;; [unrolled: 1-line block ×6, first 2 shown]
	ds_read_b32 v43, v12
	ds_read_b32 v47, v14
	ds_read2_b32 v[16:17], v18 offset0:48 offset1:104
	ds_read2_b32 v[12:13], v74 offset0:192 offset1:248
	ds_read_b32 v44, v15
	ds_read2_b32 v[14:15], v18 offset0:160 offset1:216
	v_mov_b32_e32 v46, v10
	s_waitcnt lgkmcnt(3)
	v_mov_b32_e32 v18, v16
	v_mov_b32_e32 v45, v4
	;; [unrolled: 1-line block ×4, first 2 shown]
	s_waitcnt lgkmcnt(2)
	v_mov_b32_e32 v23, v12
	v_mov_b32_e32 v20, v12
	v_mad_u64_u32 v[34:35], s[14:15], s8, v37, 0
	v_add_u32_e32 v55, 0x70, v37
	v_add_u32_e32 v57, 0xe0, v37
	v_mad_u64_u32 v[64:65], s[14:15], s8, v57, 0
	v_mov_b32_e32 v42, v4
	s_mov_b32 s18, 0x3f955555
	s_mov_b32 s16, s13
	s_mov_b32 s17, s12
	s_waitcnt vmcnt(2)
	v_mul_f32_e32 v56, v22, v29
	s_waitcnt vmcnt(1)
	v_mov_b32_e32 v60, v31
	s_waitcnt vmcnt(0)
	v_mov_b32_e32 v61, v51
	s_waitcnt lgkmcnt(0)
	v_mul_f32_e32 v41, v14, v33
	v_mul_f32_e32 v54, v10, v31
	v_mov_b32_e32 v58, v30
	v_mov_b32_e32 v59, v50
	v_pk_mul_f32 v[60:61], v[18:19], v[60:61]
	v_fma_f32 v63, v6, v32, -v41
	v_pk_fma_f32 v[46:47], v[46:47], v[58:59], v[60:61]
	v_mov_b32_e32 v59, v32
	v_fmac_f32_e32 v54, v30, v16
	v_mov_b32_e32 v32, v51
	v_pk_fma_f32 v[30:31], v[10:11], v[30:31], v[60:61] neg_lo:[0,0,1] neg_hi:[0,0,1]
	v_mov_b32_e32 v60, v29
	v_mov_b32_e32 v61, v53
	v_mul_f32_e32 v12, v43, v27
	v_pk_mul_f32 v[32:33], v[48:49], v[32:33]
	v_mov_b32_e32 v48, v28
	v_mov_b32_e32 v49, v52
	v_fmac_f32_e32 v56, v28, v44
	v_pk_mul_f32 v[44:45], v[44:45], v[60:61]
	v_mov_b32_e32 v61, v26
	v_pk_fma_f32 v[48:49], v[22:23], v[48:49], v[44:45]
	v_pk_fma_f32 v[22:23], v[22:23], v[28:29], v[44:45] neg_lo:[0,0,1] neg_hi:[0,0,1]
	v_fma_f32 v29, v21, v26, -v12
	v_mov_b32_e32 v26, v53
	v_pk_mul_f32 v[20:21], v[20:21], v[26:27]
	v_mov_b32_e32 v6, v35
	v_mad_u64_u32 v[26:27], s[14:15], s8, v55, 0
	v_mad_u64_u32 v[44:45], s[14:15], s9, v37, v[6:7]
	v_mov_b32_e32 v6, v27
	v_mov_b32_e32 v35, v44
	v_mad_u64_u32 v[44:45], s[14:15], s9, v55, v[6:7]
	v_mov_b32_e32 v6, v65
	v_mov_b32_e32 v27, v44
	v_mad_u64_u32 v[44:45], s[14:15], s9, v57, v[6:7]
	v_add_u32_e32 v10, 0x150, v37
	v_mov_b32_e32 v6, v19
	v_mov_b32_e32 v18, v19
	v_mov_b32_e32 v19, v14
	v_mov_b32_e32 v58, v50
	v_mov_b32_e32 v60, v52
	v_mov_b32_e32 v65, v44
	v_pk_fma_f32 v[44:45], v[6:7], v[50:51], v[32:33] neg_lo:[0,0,1] neg_hi:[0,0,1]
	v_pk_fma_f32 v[32:33], v[18:19], v[58:59], v[32:33]
	v_mad_u64_u32 v[58:59], s[14:15], s8, v10, 0
	v_pk_fma_f32 v[66:67], v[42:43], v[60:61], v[20:21] neg_lo:[0,0,1] neg_hi:[0,0,1]
	v_pk_fma_f32 v[20:21], v[42:43], v[60:61], v[20:21]
	v_mov_b32_e32 v6, v59
	v_mov_b32_e32 v31, v47
	;; [unrolled: 1-line block ×5, first 2 shown]
	v_add_f32_e32 v51, v56, v54
	v_add_f32_e32 v52, v29, v63
	v_mad_u64_u32 v[18:19], s[14:15], s9, v10, v[6:7]
	v_pk_add_f32 v[42:43], v[22:23], v[30:31] neg_lo:[0,1] neg_hi:[0,1]
	v_pk_add_f32 v[60:61], v[66:67], v[44:45]
	v_pk_add_f32 v[22:23], v[22:23], v[30:31]
	v_mov_b32_e32 v59, v18
	v_add_f32_e32 v18, v52, v22
	v_mov_b32_e32 v19, v23
	v_add_f32_e32 v31, v61, v51
	v_mov_b32_e32 v30, v60
	v_pk_add_f32 v[30:31], v[18:19], v[30:31]
	ds_read2_b32 v[18:19], v1 offset1:168
	v_mov_b32_e32 v32, v33
	v_mov_b32_e32 v33, v44
	;; [unrolled: 1-line block ×4, first 2 shown]
	v_pk_add_f32 v[54:55], v[56:57], v[54:55] neg_lo:[0,1] neg_hi:[0,1]
	v_mov_b32_e32 v4, v21
	v_mov_b32_e32 v1, v42
	v_pk_add_f32 v[20:21], v[4:5], v[32:33] neg_lo:[0,1] neg_hi:[0,1]
	v_pk_add_f32 v[32:33], v[54:55], v[0:1]
	v_mov_b32_e32 v28, v49
	v_mov_b32_e32 v62, v47
	;; [unrolled: 1-line block ×6, first 2 shown]
	s_waitcnt lgkmcnt(0)
	v_mov_b32_e32 v33, v18
	v_pk_add_f32 v[28:29], v[28:29], v[62:63] neg_lo:[0,1] neg_hi:[0,1]
	v_lshl_add_u64 v[34:35], v[34:35], 3, v[24:25]
	v_pk_add_f32 v[66:67], v[52:53], v[50:51] neg_lo:[0,1] neg_hi:[0,1]
	v_pk_add_f32 v[32:33], v[32:33], v[30:31]
	v_mov_b32_e32 v46, v20
	v_mov_b32_e32 v47, v55
	;; [unrolled: 1-line block ×4, first 2 shown]
	v_pk_mul_f32 v[66:67], v[66:67], s[12:13]
	v_pk_add_f32 v[44:45], v[60:61], v[22:23] neg_lo:[0,1] neg_hi:[0,1]
	v_pk_fma_f32 v[68:69], v[30:31], s[18:19], v[32:33] op_sel_hi:[1,0,1] neg_lo:[1,0,0] neg_hi:[1,0,0]
	v_pk_add_f32 v[46:47], v[46:47], v[48:49] neg_lo:[0,1] neg_hi:[0,1]
	global_store_dwordx2 v[34:35], v[32:33], off
	v_pk_add_f32 v[32:33], v[28:29], v[54:55]
	v_pk_fma_f32 v[56:57], v[44:45], s[16:17], v[66:67]
	v_pk_mul_f32 v[46:47], v[46:47], s[10:11]
	v_pk_add_f32 v[48:49], v[28:29], v[54:55] neg_lo:[0,1] neg_hi:[0,1]
	s_mov_b32 s14, s11
	s_mov_b32 s15, s10
	v_mov_b32_e32 v33, v29
	v_pk_add_f32 v[30:31], v[56:57], v[68:69]
	v_pk_fma_f32 v[56:57], v[48:49], s[14:15], v[46:47]
	v_pk_add_f32 v[34:35], v[32:33], v[20:21]
	v_or_b32_e32 v1, 0x1c0, v37
	v_pk_fma_f32 v[32:33], v[34:35], s[6:7], v[56:57] op_sel_hi:[1,0,1]
	v_mad_u64_u32 v[70:71], s[20:21], s8, v1, 0
	v_pk_add_f32 v[56:57], v[30:31], v[32:33] neg_lo:[0,1] neg_hi:[0,1]
	v_pk_add_f32 v[62:63], v[30:31], v[32:33]
	v_lshl_add_u64 v[26:27], v[26:27], 3, v[24:25]
	v_mov_b32_e32 v30, v62
	v_mov_b32_e32 v31, v57
	;; [unrolled: 1-line block ×3, first 2 shown]
	global_store_dwordx2 v[26:27], v[30:31], off
	v_mad_u64_u32 v[26:27], s[20:21], s9, v1, v[2:3]
	v_add_u32_e32 v1, 0x230, v37
	v_mad_u64_u32 v[72:73], s[20:21], s8, v1, 0
	v_mov_b32_e32 v23, v51
	v_mov_b32_e32 v53, v61
	v_pk_mul_f32 v[44:45], v[44:45], s[16:17]
	v_pk_mul_f32 v[48:49], v[48:49], s[14:15]
	v_mov_b32_e32 v55, v42
	v_mov_b32_e32 v21, v29
	;; [unrolled: 1-line block ×3, first 2 shown]
	v_pk_add_f32 v[50:51], v[22:23], v[52:53] neg_lo:[0,1] neg_hi:[0,1]
	v_mov_b32_e32 v22, v66
	v_mov_b32_e32 v23, v45
	v_pk_add_f32 v[42:43], v[54:55], v[20:21] neg_lo:[0,1] neg_hi:[0,1]
	v_mov_b32_e32 v20, v46
	v_mov_b32_e32 v21, v49
	;; [unrolled: 1-line block ×3, first 2 shown]
	v_mad_u64_u32 v[26:27], s[20:21], s9, v1, v[2:3]
	v_pk_fma_f32 v[22:23], v[50:51], s[0:1], v[22:23] op_sel_hi:[1,0,1] neg_lo:[1,0,1] neg_hi:[1,0,1]
	v_pk_fma_f32 v[20:21], v[42:43], s[2:3], v[20:21] op_sel_hi:[1,0,1] neg_lo:[1,0,1] neg_hi:[1,0,1]
	v_mov_b32_e32 v73, v26
	v_mul_i32_i24_e32 v26, 6, v38
	v_mov_b32_e32 v27, 0
	v_pk_add_f32 v[22:23], v[22:23], v[68:69]
	v_pk_fma_f32 v[20:21], v[34:35], s[6:7], v[20:21] op_sel_hi:[1,0,1]
	v_lshl_add_u64 v[30:31], v[26:27], 3, s[4:5]
	v_pk_add_f32 v[52:53], v[22:23], v[20:21] neg_lo:[0,1] neg_hi:[0,1]
	v_pk_add_f32 v[54:55], v[22:23], v[20:21]
	v_lshl_add_u64 v[26:27], v[64:65], 3, v[24:25]
	v_mov_b32_e32 v28, v54
	global_load_dwordx4 v[20:23], v[30:31], off offset:880
	v_mov_b32_e32 v29, v53
	global_store_dwordx2 v[26:27], v[28:29], off
	global_load_dwordx4 v[26:29], v[30:31], off offset:912
	v_mov_b32_e32 v49, v47
	global_load_dwordx4 v[30:33], v[30:31], off offset:896
	v_sub_u32_e32 v1, 0, v40
	v_pk_fma_f32 v[40:41], v[42:43], s[2:3], v[48:49] op_sel_hi:[1,0,1] neg_lo:[0,0,1] neg_hi:[0,0,1]
	v_mov_b32_e32 v45, v67
	v_pk_fma_f32 v[34:35], v[34:35], s[6:7], v[40:41] op_sel_hi:[1,0,1]
	v_pk_fma_f32 v[40:41], v[50:51], s[0:1], v[44:45] op_sel_hi:[1,0,1] neg_lo:[0,0,1] neg_hi:[0,0,1]
	v_add_u32_e32 v1, v39, v1
	v_pk_add_f32 v[40:41], v[40:41], v[68:69]
	v_lshl_add_u64 v[48:49], v[58:59], 3, v[24:25]
	v_pk_add_f32 v[50:51], v[40:41], v[34:35]
	v_pk_add_f32 v[34:35], v[40:41], v[34:35] neg_lo:[0,1] neg_hi:[0,1]
	v_add_u32_e32 v4, 0x2a0, v37
	v_mov_b32_e32 v40, v34
	v_mov_b32_e32 v41, v51
	ds_read_b32 v1, v1
	ds_read2_b32 v[46:47], v74 offset0:24 offset1:136
	global_store_dwordx2 v[48:49], v[40:41], off
	v_mad_u64_u32 v[40:41], s[4:5], s8, v4, 0
	s_mov_b32 s3, 0x24924925
	s_movk_i32 s1, 0x2a0
	v_lshl_add_u64 v[58:59], v[72:73], 3, v[24:25]
	v_mov_b32_e32 v51, v35
	v_mov_b32_e32 v53, v55
	;; [unrolled: 1-line block ×4, first 2 shown]
	s_waitcnt lgkmcnt(0)
	v_mov_b32_e32 v63, v47
	v_mov_b32_e32 v12, v46
	;; [unrolled: 1-line block ×4, first 2 shown]
	s_waitcnt vmcnt(4)
	v_mul_f32_e32 v2, v19, v21
	v_fma_f32 v43, v3, v20, -v2
	v_mul_f32_e32 v16, v22, v46
	s_waitcnt vmcnt(2)
	v_mul_f32_e32 v2, v29, v15
	v_fma_f32 v39, v7, v28, -v2
	v_mov_b32_e32 v2, v41
	v_mad_u64_u32 v[48:49], s[4:5], s9, v4, v[2:3]
	v_lshrrev_b32_e32 v2, 4, v36
	v_mul_hi_u32 v2, v2, s3
	v_mad_u32_u24 v4, v2, s1, v36
	v_mov_b32_e32 v41, v48
	v_mad_u64_u32 v[36:37], s[4:5], s8, v4, 0
	v_lshl_add_u64 v[48:49], v[70:71], 3, v[24:25]
	v_lshl_add_u64 v[40:41], v[40:41], 3, v[24:25]
	v_mov_b32_e32 v2, v37
	global_store_dwordx2 v[48:49], v[50:51], off
	global_store_dwordx2 v[58:59], v[52:53], off
	;; [unrolled: 1-line block ×3, first 2 shown]
	v_mad_u64_u32 v[40:41], s[4:5], s9, v4, v[2:3]
	v_add_u32_e32 v6, 0x70, v4
	v_mov_b32_e32 v37, v40
	v_mad_u64_u32 v[40:41], s[4:5], s8, v6, 0
	v_mov_b32_e32 v2, v41
	v_mad_u64_u32 v[48:49], s[4:5], s9, v6, v[2:3]
	v_add_u32_e32 v6, 0xe0, v4
	v_mov_b32_e32 v41, v48
	v_mad_u64_u32 v[48:49], s[4:5], s8, v6, 0
	v_mov_b32_e32 v2, v49
	;; [unrolled: 5-line block ×6, first 2 shown]
	v_mad_u64_u32 v[58:59], s[4:5], s9, v4, v[2:3]
	v_mov_b32_e32 v57, v58
	v_mov_b32_e32 v60, v27
	s_waitcnt vmcnt(4)
	v_mov_b32_e32 v61, v30
	v_mul_f32_e32 v10, v26, v17
	v_lshl_add_u64 v[36:37], v[36:37], 3, v[24:25]
	v_lshl_add_u64 v[40:41], v[40:41], 3, v[24:25]
	;; [unrolled: 1-line block ×7, first 2 shown]
	v_mov_b32_e32 v2, v11
	v_mov_b32_e32 v56, v11
	;; [unrolled: 1-line block ×5, first 2 shown]
	v_pk_mul_f32 v[60:61], v[60:61], v[62:63]
	v_fmac_f32_e32 v10, v11, v27
	v_pk_fma_f32 v[26:27], v[2:3], v[26:27], v[60:61] neg_lo:[0,0,1] neg_hi:[0,0,1]
	v_pk_fma_f32 v[56:57], v[56:57], v[58:59], v[60:61]
	v_mov_b32_e32 v60, v23
	v_mov_b32_e32 v61, v32
	v_pk_mul_f32 v[60:61], v[60:61], v[12:13]
	v_fmac_f32_e32 v16, v8, v23
	v_mov_b32_e32 v58, v22
	v_pk_fma_f32 v[22:23], v[8:9], v[22:23], v[60:61] neg_lo:[0,0,1] neg_hi:[0,0,1]
	v_mov_b32_e32 v2, v9
	v_mov_b32_e32 v6, v9
	;; [unrolled: 1-line block ×7, first 2 shown]
	v_pk_mul_f32 v[14:15], v[28:29], v[14:15]
	v_mov_b32_e32 v59, v33
	v_pk_fma_f32 v[6:7], v[6:7], v[8:9], v[14:15]
	v_mov_b32_e32 v8, v33
	v_mov_b32_e32 v9, v20
	v_pk_fma_f32 v[58:59], v[4:5], v[58:59], v[60:61]
	v_pk_fma_f32 v[28:29], v[2:3], v[30:31], v[14:15] neg_lo:[0,0,1] neg_hi:[0,0,1]
	v_pk_mul_f32 v[8:9], v[8:9], v[18:19]
	v_mov_b32_e32 v2, v5
	v_mov_b32_e32 v33, v21
	;; [unrolled: 1-line block ×4, first 2 shown]
	v_pk_fma_f32 v[4:5], v[2:3], v[32:33], v[8:9] neg_lo:[0,0,1] neg_hi:[0,0,1]
	v_pk_fma_f32 v[2:3], v[2:3], v[32:33], v[8:9]
	v_pk_add_f32 v[60:61], v[22:23], v[26:27] neg_lo:[0,1] neg_hi:[0,1]
	v_mov_b32_e32 v29, v7
	v_mov_b32_e32 v5, v3
	v_mov_b32_e32 v17, v4
	v_mov_b32_e32 v11, v28
	v_pk_add_f32 v[8:9], v[4:5], v[28:29]
	v_mov_b32_e32 v4, v7
	v_mov_b32_e32 v5, v28
	v_pk_add_f32 v[6:7], v[16:17], v[10:11] neg_lo:[0,1] neg_hi:[0,1]
	v_mov_b32_e32 v2, v3
	v_mov_b32_e32 v3, v60
	v_pk_add_f32 v[4:5], v[2:3], v[4:5] neg_lo:[0,1] neg_hi:[0,1]
	v_pk_add_f32 v[2:3], v[6:7], v[2:3]
	v_mov_b32_e32 v42, v59
	v_mov_b32_e32 v38, v57
	v_add_f32_e32 v45, v16, v10
	v_add_f32_e32 v34, v43, v39
	v_pk_add_f32 v[14:15], v[22:23], v[26:27]
	v_mov_b32_e32 v5, v3
	v_pk_add_f32 v[2:3], v[42:43], v[38:39] neg_lo:[0,1] neg_hi:[0,1]
	v_add_f32_e32 v13, v9, v45
	v_mov_b32_e32 v35, v15
	v_mov_b32_e32 v44, v8
	v_add_f32_e32 v26, v34, v14
	v_mov_b32_e32 v27, v15
	v_mov_b32_e32 v12, v8
	;; [unrolled: 1-line block ×6, first 2 shown]
	v_pk_add_f32 v[18:19], v[34:35], v[44:45] neg_lo:[0,1] neg_hi:[0,1]
	v_pk_add_f32 v[12:13], v[26:27], v[12:13]
	v_pk_add_f32 v[10:11], v[10:11], v[16:17] neg_lo:[0,1] neg_hi:[0,1]
	v_pk_add_f32 v[28:29], v[2:3], v[6:7]
	v_pk_mul_f32 v[18:19], v[18:19], s[12:13]
	v_pk_add_f32 v[20:21], v[8:9], v[14:15] neg_lo:[0,1] neg_hi:[0,1]
	v_pk_add_f32 v[0:1], v[0:1], v[12:13]
	v_pk_mul_f32 v[10:11], v[10:11], s[10:11]
	v_pk_add_f32 v[16:17], v[2:3], v[6:7] neg_lo:[0,1] neg_hi:[0,1]
	v_mov_b32_e32 v29, v3
	v_pk_mul_f32 v[22:23], v[20:21], s[16:17]
	v_pk_fma_f32 v[20:21], v[20:21], s[16:17], v[18:19]
	v_pk_fma_f32 v[12:13], v[12:13], s[18:19], v[0:1] op_sel_hi:[1,0,1] neg_lo:[1,0,0] neg_hi:[1,0,0]
	v_pk_mul_f32 v[26:27], v[16:17], s[14:15]
	v_pk_fma_f32 v[16:17], v[16:17], s[14:15], v[10:11]
	v_pk_add_f32 v[28:29], v[28:29], v[4:5]
	v_pk_add_f32 v[20:21], v[20:21], v[12:13]
	v_pk_fma_f32 v[16:17], v[28:29], s[6:7], v[16:17] op_sel_hi:[1,0,1]
	global_store_dwordx2 v[36:37], v[0:1], off
	v_pk_add_f32 v[30:31], v[20:21], v[16:17] neg_lo:[0,1] neg_hi:[0,1]
	v_pk_add_f32 v[16:17], v[20:21], v[16:17]
	v_mov_b32_e32 v1, v31
	v_mov_b32_e32 v0, v16
	v_mov_b32_e32 v15, v45
	v_mov_b32_e32 v35, v9
	v_mov_b32_e32 v7, v60
	v_mov_b32_e32 v5, v3
	global_store_dwordx2 v[40:41], v[0:1], off
	v_mov_b32_e32 v0, v18
	v_mov_b32_e32 v1, v23
	v_pk_add_f32 v[8:9], v[14:15], v[34:35] neg_lo:[0,1] neg_hi:[0,1]
	v_pk_add_f32 v[2:3], v[6:7], v[4:5] neg_lo:[0,1] neg_hi:[0,1]
	v_mov_b32_e32 v4, v10
	v_mov_b32_e32 v5, v27
	v_pk_fma_f32 v[0:1], v[8:9], s[0:1], v[0:1] op_sel_hi:[1,0,1] neg_lo:[1,0,1] neg_hi:[1,0,1]
	v_pk_fma_f32 v[4:5], v[2:3], s[2:3], v[4:5] op_sel_hi:[1,0,1] neg_lo:[1,0,1] neg_hi:[1,0,1]
	v_pk_add_f32 v[0:1], v[0:1], v[12:13]
	v_pk_fma_f32 v[4:5], v[28:29], s[6:7], v[4:5] op_sel_hi:[1,0,1]
	v_mov_b32_e32 v27, v11
	v_pk_add_f32 v[6:7], v[0:1], v[4:5] neg_lo:[0,1] neg_hi:[0,1]
	v_pk_add_f32 v[0:1], v[0:1], v[4:5]
	v_mov_b32_e32 v5, v7
	v_mov_b32_e32 v4, v0
	;; [unrolled: 1-line block ×3, first 2 shown]
	global_store_dwordx2 v[48:49], v[4:5], off
	v_pk_fma_f32 v[2:3], v[2:3], s[2:3], v[26:27] op_sel_hi:[1,0,1] neg_lo:[0,0,1] neg_hi:[0,0,1]
	v_pk_fma_f32 v[4:5], v[8:9], s[0:1], v[22:23] op_sel_hi:[1,0,1] neg_lo:[0,0,1] neg_hi:[0,0,1]
	v_pk_fma_f32 v[2:3], v[28:29], s[6:7], v[2:3] op_sel_hi:[1,0,1]
	v_pk_add_f32 v[4:5], v[4:5], v[12:13]
	v_mov_b32_e32 v7, v1
	v_pk_add_f32 v[8:9], v[4:5], v[2:3]
	v_pk_add_f32 v[2:3], v[4:5], v[2:3] neg_lo:[0,1] neg_hi:[0,1]
	v_mov_b32_e32 v5, v9
	v_mov_b32_e32 v4, v2
	;; [unrolled: 1-line block ×4, first 2 shown]
	global_store_dwordx2 v[50:51], v[4:5], off
	global_store_dwordx2 v[52:53], v[8:9], off
	;; [unrolled: 1-line block ×4, first 2 shown]
.LBB0_15:
	s_endpgm
	.section	.rodata,"a",@progbits
	.p2align	6, 0x0
	.amdhsa_kernel fft_rtc_fwd_len784_factors_2_2_2_2_7_7_wgs_56_tpt_56_halfLds_sp_ip_CI_sbrr_dirReg
		.amdhsa_group_segment_fixed_size 0
		.amdhsa_private_segment_fixed_size 0
		.amdhsa_kernarg_size 88
		.amdhsa_user_sgpr_count 2
		.amdhsa_user_sgpr_dispatch_ptr 0
		.amdhsa_user_sgpr_queue_ptr 0
		.amdhsa_user_sgpr_kernarg_segment_ptr 1
		.amdhsa_user_sgpr_dispatch_id 0
		.amdhsa_user_sgpr_kernarg_preload_length 0
		.amdhsa_user_sgpr_kernarg_preload_offset 0
		.amdhsa_user_sgpr_private_segment_size 0
		.amdhsa_uses_dynamic_stack 0
		.amdhsa_enable_private_segment 0
		.amdhsa_system_sgpr_workgroup_id_x 1
		.amdhsa_system_sgpr_workgroup_id_y 0
		.amdhsa_system_sgpr_workgroup_id_z 0
		.amdhsa_system_sgpr_workgroup_info 0
		.amdhsa_system_vgpr_workitem_id 0
		.amdhsa_next_free_vgpr 75
		.amdhsa_next_free_sgpr 24
		.amdhsa_accum_offset 76
		.amdhsa_reserve_vcc 1
		.amdhsa_float_round_mode_32 0
		.amdhsa_float_round_mode_16_64 0
		.amdhsa_float_denorm_mode_32 3
		.amdhsa_float_denorm_mode_16_64 3
		.amdhsa_dx10_clamp 1
		.amdhsa_ieee_mode 1
		.amdhsa_fp16_overflow 0
		.amdhsa_tg_split 0
		.amdhsa_exception_fp_ieee_invalid_op 0
		.amdhsa_exception_fp_denorm_src 0
		.amdhsa_exception_fp_ieee_div_zero 0
		.amdhsa_exception_fp_ieee_overflow 0
		.amdhsa_exception_fp_ieee_underflow 0
		.amdhsa_exception_fp_ieee_inexact 0
		.amdhsa_exception_int_div_zero 0
	.end_amdhsa_kernel
	.text
.Lfunc_end0:
	.size	fft_rtc_fwd_len784_factors_2_2_2_2_7_7_wgs_56_tpt_56_halfLds_sp_ip_CI_sbrr_dirReg, .Lfunc_end0-fft_rtc_fwd_len784_factors_2_2_2_2_7_7_wgs_56_tpt_56_halfLds_sp_ip_CI_sbrr_dirReg
                                        ; -- End function
	.section	.AMDGPU.csdata,"",@progbits
; Kernel info:
; codeLenInByte = 9008
; NumSgprs: 30
; NumVgprs: 75
; NumAgprs: 0
; TotalNumVgprs: 75
; ScratchSize: 0
; MemoryBound: 0
; FloatMode: 240
; IeeeMode: 1
; LDSByteSize: 0 bytes/workgroup (compile time only)
; SGPRBlocks: 3
; VGPRBlocks: 9
; NumSGPRsForWavesPerEU: 30
; NumVGPRsForWavesPerEU: 75
; AccumOffset: 76
; Occupancy: 6
; WaveLimiterHint : 1
; COMPUTE_PGM_RSRC2:SCRATCH_EN: 0
; COMPUTE_PGM_RSRC2:USER_SGPR: 2
; COMPUTE_PGM_RSRC2:TRAP_HANDLER: 0
; COMPUTE_PGM_RSRC2:TGID_X_EN: 1
; COMPUTE_PGM_RSRC2:TGID_Y_EN: 0
; COMPUTE_PGM_RSRC2:TGID_Z_EN: 0
; COMPUTE_PGM_RSRC2:TIDIG_COMP_CNT: 0
; COMPUTE_PGM_RSRC3_GFX90A:ACCUM_OFFSET: 18
; COMPUTE_PGM_RSRC3_GFX90A:TG_SPLIT: 0
	.text
	.p2alignl 6, 3212836864
	.fill 256, 4, 3212836864
	.type	__hip_cuid_4edad4035741522c,@object ; @__hip_cuid_4edad4035741522c
	.section	.bss,"aw",@nobits
	.globl	__hip_cuid_4edad4035741522c
__hip_cuid_4edad4035741522c:
	.byte	0                               ; 0x0
	.size	__hip_cuid_4edad4035741522c, 1

	.ident	"AMD clang version 19.0.0git (https://github.com/RadeonOpenCompute/llvm-project roc-6.4.0 25133 c7fe45cf4b819c5991fe208aaa96edf142730f1d)"
	.section	".note.GNU-stack","",@progbits
	.addrsig
	.addrsig_sym __hip_cuid_4edad4035741522c
	.amdgpu_metadata
---
amdhsa.kernels:
  - .agpr_count:     0
    .args:
      - .actual_access:  read_only
        .address_space:  global
        .offset:         0
        .size:           8
        .value_kind:     global_buffer
      - .offset:         8
        .size:           8
        .value_kind:     by_value
      - .actual_access:  read_only
        .address_space:  global
        .offset:         16
        .size:           8
        .value_kind:     global_buffer
      - .actual_access:  read_only
        .address_space:  global
        .offset:         24
        .size:           8
        .value_kind:     global_buffer
      - .offset:         32
        .size:           8
        .value_kind:     by_value
      - .actual_access:  read_only
        .address_space:  global
        .offset:         40
        .size:           8
        .value_kind:     global_buffer
      - .actual_access:  read_only
        .address_space:  global
        .offset:         48
        .size:           8
        .value_kind:     global_buffer
      - .offset:         56
        .size:           4
        .value_kind:     by_value
      - .actual_access:  read_only
        .address_space:  global
        .offset:         64
        .size:           8
        .value_kind:     global_buffer
      - .actual_access:  read_only
        .address_space:  global
        .offset:         72
        .size:           8
        .value_kind:     global_buffer
      - .address_space:  global
        .offset:         80
        .size:           8
        .value_kind:     global_buffer
    .group_segment_fixed_size: 0
    .kernarg_segment_align: 8
    .kernarg_segment_size: 88
    .language:       OpenCL C
    .language_version:
      - 2
      - 0
    .max_flat_workgroup_size: 56
    .name:           fft_rtc_fwd_len784_factors_2_2_2_2_7_7_wgs_56_tpt_56_halfLds_sp_ip_CI_sbrr_dirReg
    .private_segment_fixed_size: 0
    .sgpr_count:     30
    .sgpr_spill_count: 0
    .symbol:         fft_rtc_fwd_len784_factors_2_2_2_2_7_7_wgs_56_tpt_56_halfLds_sp_ip_CI_sbrr_dirReg.kd
    .uniform_work_group_size: 1
    .uses_dynamic_stack: false
    .vgpr_count:     75
    .vgpr_spill_count: 0
    .wavefront_size: 64
amdhsa.target:   amdgcn-amd-amdhsa--gfx950
amdhsa.version:
  - 1
  - 2
...

	.end_amdgpu_metadata
